;; amdgpu-corpus repo=ROCm/hip-tests kind=compiled arch=gfx1100 opt=O3
	.text
	.amdgcn_target "amdgcn-amd-amdhsa--gfx1100"
	.amdhsa_code_object_version 6
	.protected	_Z24MakeHipComplexTypeKernelP15HIP_vector_typeIfLj2EEff ; -- Begin function _Z24MakeHipComplexTypeKernelP15HIP_vector_typeIfLj2EEff
	.globl	_Z24MakeHipComplexTypeKernelP15HIP_vector_typeIfLj2EEff
	.p2align	8
	.type	_Z24MakeHipComplexTypeKernelP15HIP_vector_typeIfLj2EEff,@function
_Z24MakeHipComplexTypeKernelP15HIP_vector_typeIfLj2EEff: ; @_Z24MakeHipComplexTypeKernelP15HIP_vector_typeIfLj2EEff
; %bb.0:
	s_load_b128 s[0:3], s[0:1], 0x0
	v_mov_b32_e32 v2, 0
	s_waitcnt lgkmcnt(0)
	v_dual_mov_b32 v0, s2 :: v_dual_mov_b32 v1, s3
	global_store_b64 v2, v[0:1], s[0:1]
	s_nop 0
	s_sendmsg sendmsg(MSG_DEALLOC_VGPRS)
	s_endpgm
	.section	.rodata,"a",@progbits
	.p2align	6, 0x0
	.amdhsa_kernel _Z24MakeHipComplexTypeKernelP15HIP_vector_typeIfLj2EEff
		.amdhsa_group_segment_fixed_size 0
		.amdhsa_private_segment_fixed_size 0
		.amdhsa_kernarg_size 16
		.amdhsa_user_sgpr_count 15
		.amdhsa_user_sgpr_dispatch_ptr 0
		.amdhsa_user_sgpr_queue_ptr 0
		.amdhsa_user_sgpr_kernarg_segment_ptr 1
		.amdhsa_user_sgpr_dispatch_id 0
		.amdhsa_user_sgpr_private_segment_size 0
		.amdhsa_wavefront_size32 1
		.amdhsa_uses_dynamic_stack 0
		.amdhsa_enable_private_segment 0
		.amdhsa_system_sgpr_workgroup_id_x 1
		.amdhsa_system_sgpr_workgroup_id_y 0
		.amdhsa_system_sgpr_workgroup_id_z 0
		.amdhsa_system_sgpr_workgroup_info 0
		.amdhsa_system_vgpr_workitem_id 0
		.amdhsa_next_free_vgpr 3
		.amdhsa_next_free_sgpr 4
		.amdhsa_reserve_vcc 0
		.amdhsa_float_round_mode_32 0
		.amdhsa_float_round_mode_16_64 0
		.amdhsa_float_denorm_mode_32 3
		.amdhsa_float_denorm_mode_16_64 3
		.amdhsa_dx10_clamp 1
		.amdhsa_ieee_mode 1
		.amdhsa_fp16_overflow 0
		.amdhsa_workgroup_processor_mode 1
		.amdhsa_memory_ordered 1
		.amdhsa_forward_progress 0
		.amdhsa_shared_vgpr_count 0
		.amdhsa_exception_fp_ieee_invalid_op 0
		.amdhsa_exception_fp_denorm_src 0
		.amdhsa_exception_fp_ieee_div_zero 0
		.amdhsa_exception_fp_ieee_overflow 0
		.amdhsa_exception_fp_ieee_underflow 0
		.amdhsa_exception_fp_ieee_inexact 0
		.amdhsa_exception_int_div_zero 0
	.end_amdhsa_kernel
	.text
.Lfunc_end0:
	.size	_Z24MakeHipComplexTypeKernelP15HIP_vector_typeIfLj2EEff, .Lfunc_end0-_Z24MakeHipComplexTypeKernelP15HIP_vector_typeIfLj2EEff
                                        ; -- End function
	.section	.AMDGPU.csdata,"",@progbits
; Kernel info:
; codeLenInByte = 44
; NumSgprs: 4
; NumVgprs: 3
; ScratchSize: 0
; MemoryBound: 0
; FloatMode: 240
; IeeeMode: 1
; LDSByteSize: 0 bytes/workgroup (compile time only)
; SGPRBlocks: 0
; VGPRBlocks: 0
; NumSGPRsForWavesPerEU: 4
; NumVGPRsForWavesPerEU: 3
; Occupancy: 16
; WaveLimiterHint : 0
; COMPUTE_PGM_RSRC2:SCRATCH_EN: 0
; COMPUTE_PGM_RSRC2:USER_SGPR: 15
; COMPUTE_PGM_RSRC2:TRAP_HANDLER: 0
; COMPUTE_PGM_RSRC2:TGID_X_EN: 1
; COMPUTE_PGM_RSRC2:TGID_Y_EN: 0
; COMPUTE_PGM_RSRC2:TGID_Z_EN: 0
; COMPUTE_PGM_RSRC2:TIDIG_COMP_CNT: 0
	.section	.text._Z19ComplexResultKernelI15HIP_vector_typeIfLj2EEEv15ComplexFunctionPT_S3_S3_S3_,"axG",@progbits,_Z19ComplexResultKernelI15HIP_vector_typeIfLj2EEEv15ComplexFunctionPT_S3_S3_S3_,comdat
	.protected	_Z19ComplexResultKernelI15HIP_vector_typeIfLj2EEEv15ComplexFunctionPT_S3_S3_S3_ ; -- Begin function _Z19ComplexResultKernelI15HIP_vector_typeIfLj2EEEv15ComplexFunctionPT_S3_S3_S3_
	.globl	_Z19ComplexResultKernelI15HIP_vector_typeIfLj2EEEv15ComplexFunctionPT_S3_S3_S3_
	.p2align	8
	.type	_Z19ComplexResultKernelI15HIP_vector_typeIfLj2EEEv15ComplexFunctionPT_S3_S3_S3_,@function
_Z19ComplexResultKernelI15HIP_vector_typeIfLj2EEEv15ComplexFunctionPT_S3_S3_S3_: ; @_Z19ComplexResultKernelI15HIP_vector_typeIfLj2EEEv15ComplexFunctionPT_S3_S3_S3_
; %bb.0:
	s_clause 0x2
	s_load_b32 s8, s[0:1], 0x0
	s_load_b64 s[2:3], s[0:1], 0x8
	s_load_b128 s[4:7], s[0:1], 0x10
	s_mov_b32 s11, -1
	s_mov_b32 s9, 0
	s_mov_b32 s10, 0
	s_waitcnt lgkmcnt(0)
	s_cmp_lt_i32 s8, 5
	s_cbranch_scc1 .LBB1_14
; %bb.1:
	s_cmp_gt_i32 s8, 5
	s_cbranch_scc0 .LBB1_6
; %bb.2:
	s_cmp_gt_i32 s8, 8
	s_cbranch_scc0 .LBB1_7
; %bb.3:
	s_cmp_eq_u32 s8, 9
	s_mov_b32 s10, -1
	s_cbranch_scc0 .LBB1_5
; %bb.4:
	s_load_b64 s[0:1], s[0:1], 0x20
	v_mov_b32_e32 v2, 0
	s_mov_b32 s10, 0
	s_waitcnt lgkmcnt(0)
	v_dual_mov_b32 v0, s0 :: v_dual_mov_b32 v1, s1
	s_delay_alu instid0(VALU_DEP_1) | instskip(NEXT) | instid1(VALU_DEP_2)
	v_fma_f32 v0, s6, s4, v0
	v_fmac_f32_e64 v1, s5, s6
	s_delay_alu instid0(VALU_DEP_2) | instskip(NEXT) | instid1(VALU_DEP_2)
	v_fma_f32 v0, -s5, s7, v0
	v_fmac_f32_e64 v1, s4, s7
	global_store_b64 v2, v[0:1], s[2:3]
.LBB1_5:
	s_branch .LBB1_10
.LBB1_6:
	s_mov_b32 s0, -1
	s_branch .LBB1_11
.LBB1_7:
	s_cbranch_execz .LBB1_10
; %bb.8:
	s_cmp_eq_u32 s8, 6
	s_mov_b32 s10, -1
	s_cbranch_scc0 .LBB1_10
; %bb.9:
	v_mul_f32_e64 v1, s7, s7
	v_mul_f32_e64 v0, s5, s7
	;; [unrolled: 1-line block ×3, first 2 shown]
	s_mov_b32 s10, 0
	s_delay_alu instid0(VALU_DEP_3) | instskip(NEXT) | instid1(VALU_DEP_3)
	v_fmac_f32_e64 v1, s6, s6
	v_fmac_f32_e64 v0, s4, s6
	s_delay_alu instid0(VALU_DEP_3) | instskip(NEXT) | instid1(VALU_DEP_2)
	v_fma_f32 v2, s5, s6, -v2
	v_div_scale_f32 v3, null, v1, v1, v0
	s_delay_alu instid0(VALU_DEP_2) | instskip(SKIP_1) | instid1(VALU_DEP_3)
	v_div_scale_f32 v4, null, v1, v1, v2
	v_div_scale_f32 v9, vcc_lo, v0, v1, v0
	v_rcp_f32_e32 v5, v3
	s_delay_alu instid0(VALU_DEP_2) | instskip(SKIP_3) | instid1(VALU_DEP_1)
	v_rcp_f32_e32 v6, v4
	s_waitcnt_depctr 0xfff
	v_fma_f32 v7, -v3, v5, 1.0
	v_fma_f32 v8, -v4, v6, 1.0
	v_dual_fmac_f32 v5, v7, v5 :: v_dual_fmac_f32 v6, v8, v6
	v_div_scale_f32 v7, s0, v2, v1, v2
	s_delay_alu instid0(VALU_DEP_2) | instskip(NEXT) | instid1(VALU_DEP_2)
	v_mul_f32_e32 v8, v9, v5
	v_mul_f32_e32 v10, v7, v6
	s_delay_alu instid0(VALU_DEP_2) | instskip(NEXT) | instid1(VALU_DEP_2)
	v_fma_f32 v11, -v3, v8, v9
	v_fma_f32 v12, -v4, v10, v7
	s_delay_alu instid0(VALU_DEP_2) | instskip(NEXT) | instid1(VALU_DEP_2)
	v_fmac_f32_e32 v8, v11, v5
	v_fmac_f32_e32 v10, v12, v6
	s_delay_alu instid0(VALU_DEP_2) | instskip(NEXT) | instid1(VALU_DEP_2)
	v_fma_f32 v3, -v3, v8, v9
	v_fma_f32 v4, -v4, v10, v7
	s_delay_alu instid0(VALU_DEP_2) | instskip(SKIP_2) | instid1(VALU_DEP_2)
	v_div_fmas_f32 v3, v3, v5, v8
	s_mov_b32 vcc_lo, s0
	s_mov_b32 s0, 0
	v_div_fmas_f32 v4, v4, v6, v10
	s_delay_alu instid0(VALU_DEP_2) | instskip(NEXT) | instid1(VALU_DEP_2)
	v_div_fixup_f32 v0, v3, v1, v0
	v_div_fixup_f32 v1, v4, v1, v2
	v_mov_b32_e32 v2, 0
	global_store_b64 v2, v[0:1], s[2:3]
	s_branch .LBB1_11
.LBB1_10:
	s_mov_b32 s0, 0
.LBB1_11:
	s_delay_alu instid0(SALU_CYCLE_1)
	s_and_b32 vcc_lo, exec_lo, s0
	s_cbranch_vccz .LBB1_13
; %bb.12:
	v_mul_f32_e64 v0, s5, s7
	v_mul_f32_e64 v1, s4, s7
	v_mov_b32_e32 v2, 0
	s_delay_alu instid0(VALU_DEP_3) | instskip(NEXT) | instid1(VALU_DEP_3)
	v_fma_f32 v0, s4, s6, -v0
	v_fmac_f32_e64 v1, s5, s6
	global_store_b64 v2, v[0:1], s[2:3]
.LBB1_13:
	s_mov_b32 s11, 0
.LBB1_14:
	s_delay_alu instid0(SALU_CYCLE_1)
	s_and_b32 vcc_lo, exec_lo, s11
	s_cbranch_vccz .LBB1_23
; %bb.15:
	s_cmp_gt_i32 s8, 2
	s_mov_b32 s0, -1
	s_cbranch_scc0 .LBB1_21
; %bb.16:
	s_cmp_gt_i32 s8, 3
	s_cbranch_scc0 .LBB1_18
; %bb.17:
	v_sub_f32_e64 v0, s4, s6
	v_sub_f32_e64 v1, s5, s7
	v_mov_b32_e32 v2, 0
	s_mov_b32 s0, 0
	global_store_b64 v2, v[0:1], s[2:3]
.LBB1_18:
	s_and_not1_b32 vcc_lo, exec_lo, s0
	s_cbranch_vccnz .LBB1_20
; %bb.19:
	v_add_f32_e64 v0, s4, s6
	v_add_f32_e64 v1, s5, s7
	v_mov_b32_e32 v2, 0
	global_store_b64 v2, v[0:1], s[2:3]
.LBB1_20:
	s_mov_b32 s0, 0
.LBB1_21:
	s_delay_alu instid0(SALU_CYCLE_1)
	s_and_not1_b32 vcc_lo, exec_lo, s0
	s_cbranch_vccnz .LBB1_23
; %bb.22:
	s_cmp_lg_u32 s8, 2
	s_mov_b32 s9, -1
	s_cselect_b32 s10, -1, 0
.LBB1_23:
	s_delay_alu instid0(SALU_CYCLE_1)
	s_and_b32 vcc_lo, exec_lo, s10
	s_cbranch_vccnz .LBB1_26
; %bb.24:
	s_and_not1_b32 vcc_lo, exec_lo, s9
	s_cbranch_vccz .LBB1_27
.LBB1_25:
	s_nop 0
	s_sendmsg sendmsg(MSG_DEALLOC_VGPRS)
	s_endpgm
.LBB1_26:
	v_dual_mov_b32 v0, s4 :: v_dual_mov_b32 v1, s5
	v_mov_b32_e32 v2, 0
	global_store_b64 v2, v[0:1], s[2:3]
	s_cbranch_execnz .LBB1_25
.LBB1_27:
	s_xor_b32 s0, s5, 0x80000000
	s_delay_alu instid0(SALU_CYCLE_1)
	v_dual_mov_b32 v0, s4 :: v_dual_mov_b32 v1, s0
	v_mov_b32_e32 v2, 0
	global_store_b64 v2, v[0:1], s[2:3]
	s_nop 0
	s_sendmsg sendmsg(MSG_DEALLOC_VGPRS)
	s_endpgm
	.section	.rodata,"a",@progbits
	.p2align	6, 0x0
	.amdhsa_kernel _Z19ComplexResultKernelI15HIP_vector_typeIfLj2EEEv15ComplexFunctionPT_S3_S3_S3_
		.amdhsa_group_segment_fixed_size 0
		.amdhsa_private_segment_fixed_size 0
		.amdhsa_kernarg_size 40
		.amdhsa_user_sgpr_count 15
		.amdhsa_user_sgpr_dispatch_ptr 0
		.amdhsa_user_sgpr_queue_ptr 0
		.amdhsa_user_sgpr_kernarg_segment_ptr 1
		.amdhsa_user_sgpr_dispatch_id 0
		.amdhsa_user_sgpr_private_segment_size 0
		.amdhsa_wavefront_size32 1
		.amdhsa_uses_dynamic_stack 0
		.amdhsa_enable_private_segment 0
		.amdhsa_system_sgpr_workgroup_id_x 1
		.amdhsa_system_sgpr_workgroup_id_y 0
		.amdhsa_system_sgpr_workgroup_id_z 0
		.amdhsa_system_sgpr_workgroup_info 0
		.amdhsa_system_vgpr_workitem_id 0
		.amdhsa_next_free_vgpr 13
		.amdhsa_next_free_sgpr 12
		.amdhsa_reserve_vcc 1
		.amdhsa_float_round_mode_32 0
		.amdhsa_float_round_mode_16_64 0
		.amdhsa_float_denorm_mode_32 3
		.amdhsa_float_denorm_mode_16_64 3
		.amdhsa_dx10_clamp 1
		.amdhsa_ieee_mode 1
		.amdhsa_fp16_overflow 0
		.amdhsa_workgroup_processor_mode 1
		.amdhsa_memory_ordered 1
		.amdhsa_forward_progress 0
		.amdhsa_shared_vgpr_count 0
		.amdhsa_exception_fp_ieee_invalid_op 0
		.amdhsa_exception_fp_denorm_src 0
		.amdhsa_exception_fp_ieee_div_zero 0
		.amdhsa_exception_fp_ieee_overflow 0
		.amdhsa_exception_fp_ieee_underflow 0
		.amdhsa_exception_fp_ieee_inexact 0
		.amdhsa_exception_int_div_zero 0
	.end_amdhsa_kernel
	.section	.text._Z19ComplexResultKernelI15HIP_vector_typeIfLj2EEEv15ComplexFunctionPT_S3_S3_S3_,"axG",@progbits,_Z19ComplexResultKernelI15HIP_vector_typeIfLj2EEEv15ComplexFunctionPT_S3_S3_S3_,comdat
.Lfunc_end1:
	.size	_Z19ComplexResultKernelI15HIP_vector_typeIfLj2EEEv15ComplexFunctionPT_S3_S3_S3_, .Lfunc_end1-_Z19ComplexResultKernelI15HIP_vector_typeIfLj2EEEv15ComplexFunctionPT_S3_S3_S3_
                                        ; -- End function
	.section	.AMDGPU.csdata,"",@progbits
; Kernel info:
; codeLenInByte = 744
; NumSgprs: 14
; NumVgprs: 13
; ScratchSize: 0
; MemoryBound: 0
; FloatMode: 240
; IeeeMode: 1
; LDSByteSize: 0 bytes/workgroup (compile time only)
; SGPRBlocks: 1
; VGPRBlocks: 1
; NumSGPRsForWavesPerEU: 14
; NumVGPRsForWavesPerEU: 13
; Occupancy: 16
; WaveLimiterHint : 0
; COMPUTE_PGM_RSRC2:SCRATCH_EN: 0
; COMPUTE_PGM_RSRC2:USER_SGPR: 15
; COMPUTE_PGM_RSRC2:TRAP_HANDLER: 0
; COMPUTE_PGM_RSRC2:TGID_X_EN: 1
; COMPUTE_PGM_RSRC2:TGID_Y_EN: 0
; COMPUTE_PGM_RSRC2:TGID_Z_EN: 0
; COMPUTE_PGM_RSRC2:TIDIG_COMP_CNT: 0
	.section	.text._Z18ScalarResultKernelI15HIP_vector_typeIfLj2EEEv15ComplexFunctionPDtdtcvT__E1xES3_,"axG",@progbits,_Z18ScalarResultKernelI15HIP_vector_typeIfLj2EEEv15ComplexFunctionPDtdtcvT__E1xES3_,comdat
	.protected	_Z18ScalarResultKernelI15HIP_vector_typeIfLj2EEEv15ComplexFunctionPDtdtcvT__E1xES3_ ; -- Begin function _Z18ScalarResultKernelI15HIP_vector_typeIfLj2EEEv15ComplexFunctionPDtdtcvT__E1xES3_
	.globl	_Z18ScalarResultKernelI15HIP_vector_typeIfLj2EEEv15ComplexFunctionPDtdtcvT__E1xES3_
	.p2align	8
	.type	_Z18ScalarResultKernelI15HIP_vector_typeIfLj2EEEv15ComplexFunctionPDtdtcvT__E1xES3_,@function
_Z18ScalarResultKernelI15HIP_vector_typeIfLj2EEEv15ComplexFunctionPDtdtcvT__E1xES3_: ; @_Z18ScalarResultKernelI15HIP_vector_typeIfLj2EEEv15ComplexFunctionPDtdtcvT__E1xES3_
; %bb.0:
	s_clause 0x1
	s_load_b32 s2, s[0:1], 0x0
	s_load_b128 s[4:7], s[0:1], 0x8
	s_mov_b32 s0, -1
	s_mov_b32 s1, 0
	s_mov_b32 s3, 0
	s_waitcnt lgkmcnt(0)
	s_cmp_lt_i32 s2, 7
	s_cbranch_scc1 .LBB2_8
; %bb.1:
	s_cmp_gt_i32 s2, 7
	s_cbranch_scc0 .LBB2_5
; %bb.2:
	s_cmp_eq_u32 s2, 8
	s_mov_b32 s3, -1
	s_cbranch_scc0 .LBB2_4
; %bb.3:
	v_mul_f32_e64 v0, s7, s7
	v_mov_b32_e32 v1, 0
	s_mov_b32 s3, 0
	s_delay_alu instid0(VALU_DEP_2)
	v_fmac_f32_e64 v0, s6, s6
	global_store_b32 v1, v0, s[4:5]
.LBB2_4:
	s_mov_b32 s0, 0
.LBB2_5:
	s_delay_alu instid0(SALU_CYCLE_1)
	s_and_b32 vcc_lo, exec_lo, s0
	s_cbranch_vccz .LBB2_7
; %bb.6:
	v_mul_f32_e64 v0, s7, s7
	s_delay_alu instid0(VALU_DEP_1) | instskip(NEXT) | instid1(VALU_DEP_1)
	v_fmac_f32_e64 v0, s6, s6
	v_mul_f32_e32 v1, 0x4f800000, v0
	v_cmp_gt_f32_e32 vcc_lo, 0xf800000, v0
	s_delay_alu instid0(VALU_DEP_2) | instskip(NEXT) | instid1(VALU_DEP_1)
	v_cndmask_b32_e32 v0, v0, v1, vcc_lo
	v_sqrt_f32_e32 v1, v0
	s_waitcnt_depctr 0xfff
	v_add_nc_u32_e32 v2, -1, v1
	v_add_nc_u32_e32 v3, 1, v1
	s_delay_alu instid0(VALU_DEP_2) | instskip(NEXT) | instid1(VALU_DEP_2)
	v_fma_f32 v4, -v2, v1, v0
	v_fma_f32 v5, -v3, v1, v0
	s_delay_alu instid0(VALU_DEP_2) | instskip(NEXT) | instid1(VALU_DEP_1)
	v_cmp_ge_f32_e64 s0, 0, v4
	v_cndmask_b32_e64 v1, v1, v2, s0
	s_delay_alu instid0(VALU_DEP_3) | instskip(NEXT) | instid1(VALU_DEP_1)
	v_cmp_lt_f32_e64 s0, 0, v5
	v_cndmask_b32_e64 v1, v1, v3, s0
	s_delay_alu instid0(VALU_DEP_1) | instskip(NEXT) | instid1(VALU_DEP_1)
	v_mul_f32_e32 v2, 0x37800000, v1
	v_cndmask_b32_e32 v1, v1, v2, vcc_lo
	v_cmp_class_f32_e64 vcc_lo, v0, 0x260
	s_delay_alu instid0(VALU_DEP_2)
	v_dual_cndmask_b32 v0, v1, v0 :: v_dual_mov_b32 v1, 0
	global_store_b32 v1, v0, s[4:5]
.LBB2_7:
	s_mov_b32 s0, 0
.LBB2_8:
	s_delay_alu instid0(SALU_CYCLE_1)
	s_and_b32 vcc_lo, exec_lo, s0
	s_cbranch_vccz .LBB2_15
; %bb.9:
	s_mov_b32 s0, -1
	s_cmp_gt_i32 s2, 0
	s_cbranch_scc0 .LBB2_13
; %bb.10:
	s_cmp_eq_u32 s2, 1
	s_mov_b32 s3, -1
	s_cbranch_scc0 .LBB2_12
; %bb.11:
	v_dual_mov_b32 v0, 0 :: v_dual_mov_b32 v1, s7
	s_mov_b32 s3, 0
	global_store_b32 v0, v1, s[4:5]
.LBB2_12:
	s_mov_b32 s0, 0
.LBB2_13:
	s_delay_alu instid0(SALU_CYCLE_1)
	s_and_b32 vcc_lo, exec_lo, s0
	s_cbranch_vccz .LBB2_15
; %bb.14:
	s_cmp_lg_u32 s2, 0
	s_mov_b32 s1, -1
	s_cselect_b32 s3, -1, 0
.LBB2_15:
	s_delay_alu instid0(SALU_CYCLE_1)
	s_and_b32 vcc_lo, exec_lo, s3
	s_cbranch_vccnz .LBB2_18
; %bb.16:
	s_and_not1_b32 vcc_lo, exec_lo, s1
	s_cbranch_vccz .LBB2_19
.LBB2_17:
	s_nop 0
	s_sendmsg sendmsg(MSG_DEALLOC_VGPRS)
	s_endpgm
.LBB2_18:
	v_dual_mov_b32 v0, 0 :: v_dual_mov_b32 v1, s6
	global_store_b32 v0, v1, s[4:5]
	s_cbranch_execnz .LBB2_17
.LBB2_19:
	v_dual_mov_b32 v0, 0 :: v_dual_mov_b32 v1, s6
	global_store_b32 v0, v1, s[4:5]
	s_nop 0
	s_sendmsg sendmsg(MSG_DEALLOC_VGPRS)
	s_endpgm
	.section	.rodata,"a",@progbits
	.p2align	6, 0x0
	.amdhsa_kernel _Z18ScalarResultKernelI15HIP_vector_typeIfLj2EEEv15ComplexFunctionPDtdtcvT__E1xES3_
		.amdhsa_group_segment_fixed_size 0
		.amdhsa_private_segment_fixed_size 0
		.amdhsa_kernarg_size 24
		.amdhsa_user_sgpr_count 15
		.amdhsa_user_sgpr_dispatch_ptr 0
		.amdhsa_user_sgpr_queue_ptr 0
		.amdhsa_user_sgpr_kernarg_segment_ptr 1
		.amdhsa_user_sgpr_dispatch_id 0
		.amdhsa_user_sgpr_private_segment_size 0
		.amdhsa_wavefront_size32 1
		.amdhsa_uses_dynamic_stack 0
		.amdhsa_enable_private_segment 0
		.amdhsa_system_sgpr_workgroup_id_x 1
		.amdhsa_system_sgpr_workgroup_id_y 0
		.amdhsa_system_sgpr_workgroup_id_z 0
		.amdhsa_system_sgpr_workgroup_info 0
		.amdhsa_system_vgpr_workitem_id 0
		.amdhsa_next_free_vgpr 6
		.amdhsa_next_free_sgpr 8
		.amdhsa_reserve_vcc 1
		.amdhsa_float_round_mode_32 0
		.amdhsa_float_round_mode_16_64 0
		.amdhsa_float_denorm_mode_32 3
		.amdhsa_float_denorm_mode_16_64 3
		.amdhsa_dx10_clamp 1
		.amdhsa_ieee_mode 1
		.amdhsa_fp16_overflow 0
		.amdhsa_workgroup_processor_mode 1
		.amdhsa_memory_ordered 1
		.amdhsa_forward_progress 0
		.amdhsa_shared_vgpr_count 0
		.amdhsa_exception_fp_ieee_invalid_op 0
		.amdhsa_exception_fp_denorm_src 0
		.amdhsa_exception_fp_ieee_div_zero 0
		.amdhsa_exception_fp_ieee_overflow 0
		.amdhsa_exception_fp_ieee_underflow 0
		.amdhsa_exception_fp_ieee_inexact 0
		.amdhsa_exception_int_div_zero 0
	.end_amdhsa_kernel
	.section	.text._Z18ScalarResultKernelI15HIP_vector_typeIfLj2EEEv15ComplexFunctionPDtdtcvT__E1xES3_,"axG",@progbits,_Z18ScalarResultKernelI15HIP_vector_typeIfLj2EEEv15ComplexFunctionPDtdtcvT__E1xES3_,comdat
.Lfunc_end2:
	.size	_Z18ScalarResultKernelI15HIP_vector_typeIfLj2EEEv15ComplexFunctionPDtdtcvT__E1xES3_, .Lfunc_end2-_Z18ScalarResultKernelI15HIP_vector_typeIfLj2EEEv15ComplexFunctionPDtdtcvT__E1xES3_
                                        ; -- End function
	.section	.AMDGPU.csdata,"",@progbits
; Kernel info:
; codeLenInByte = 452
; NumSgprs: 10
; NumVgprs: 6
; ScratchSize: 0
; MemoryBound: 0
; FloatMode: 240
; IeeeMode: 1
; LDSByteSize: 0 bytes/workgroup (compile time only)
; SGPRBlocks: 1
; VGPRBlocks: 0
; NumSGPRsForWavesPerEU: 10
; NumVGPRsForWavesPerEU: 6
; Occupancy: 16
; WaveLimiterHint : 0
; COMPUTE_PGM_RSRC2:SCRATCH_EN: 0
; COMPUTE_PGM_RSRC2:USER_SGPR: 15
; COMPUTE_PGM_RSRC2:TRAP_HANDLER: 0
; COMPUTE_PGM_RSRC2:TGID_X_EN: 1
; COMPUTE_PGM_RSRC2:TGID_Y_EN: 0
; COMPUTE_PGM_RSRC2:TGID_Z_EN: 0
; COMPUTE_PGM_RSRC2:TIDIG_COMP_CNT: 0
	.section	.text._Z19ComplexResultKernelI15HIP_vector_typeIdLj2EEEv15ComplexFunctionPT_S3_S3_S3_,"axG",@progbits,_Z19ComplexResultKernelI15HIP_vector_typeIdLj2EEEv15ComplexFunctionPT_S3_S3_S3_,comdat
	.protected	_Z19ComplexResultKernelI15HIP_vector_typeIdLj2EEEv15ComplexFunctionPT_S3_S3_S3_ ; -- Begin function _Z19ComplexResultKernelI15HIP_vector_typeIdLj2EEEv15ComplexFunctionPT_S3_S3_S3_
	.globl	_Z19ComplexResultKernelI15HIP_vector_typeIdLj2EEEv15ComplexFunctionPT_S3_S3_S3_
	.p2align	8
	.type	_Z19ComplexResultKernelI15HIP_vector_typeIdLj2EEEv15ComplexFunctionPT_S3_S3_S3_,@function
_Z19ComplexResultKernelI15HIP_vector_typeIdLj2EEEv15ComplexFunctionPT_S3_S3_S3_: ; @_Z19ComplexResultKernelI15HIP_vector_typeIdLj2EEEv15ComplexFunctionPT_S3_S3_S3_
; %bb.0:
	s_clause 0x2
	s_load_b32 s12, s[0:1], 0x0
	s_load_b256 s[4:11], s[0:1], 0x8
	s_load_b64 s[2:3], s[0:1], 0x28
	s_waitcnt lgkmcnt(0)
	s_cmp_lt_i32 s12, 5
	s_cbranch_scc1 .LBB3_5
; %bb.1:
	s_cmp_lt_i32 s12, 6
	s_cbranch_scc1 .LBB3_7
; %bb.2:
	;; [unrolled: 3-line block ×3, first 2 shown]
	s_cmp_eq_u32 s12, 9
	s_cbranch_scc0 .LBB3_9
; %bb.4:
	s_load_b128 s[16:19], s[0:1], 0x30
	s_waitcnt lgkmcnt(0)
	v_dual_mov_b32 v0, s16 :: v_dual_mov_b32 v1, s17
	v_dual_mov_b32 v2, s18 :: v_dual_mov_b32 v3, s19
	s_delay_alu instid0(VALU_DEP_2) | instskip(NEXT) | instid1(VALU_DEP_2)
	v_fma_f64 v[0:1], s[6:7], s[10:11], v[0:1]
	v_fma_f64 v[2:3], s[8:9], s[10:11], v[2:3]
	s_delay_alu instid0(VALU_DEP_2) | instskip(NEXT) | instid1(VALU_DEP_2)
	v_fma_f64 v[0:1], -s[8:9], s[2:3], v[0:1]
	v_fma_f64 v[2:3], s[6:7], s[2:3], v[2:3]
	s_cbranch_execz .LBB3_10
	s_branch .LBB3_12
.LBB3_5:
                                        ; implicit-def: $vgpr2_vgpr3
	s_branch .LBB3_15
.LBB3_6:
	v_mov_b32_e32 v4, 0
	global_store_b128 v4, v[0:3], s[4:5]
	s_nop 0
	s_sendmsg sendmsg(MSG_DEALLOC_VGPRS)
	s_endpgm
.LBB3_7:
                                        ; implicit-def: $vgpr2_vgpr3
	s_branch .LBB3_13
.LBB3_8:
                                        ; implicit-def: $vgpr2_vgpr3
	s_branch .LBB3_10
.LBB3_9:
	v_dual_mov_b32 v2, s8 :: v_dual_mov_b32 v3, s9
	v_dual_mov_b32 v0, s6 :: v_dual_mov_b32 v1, s7
	s_cbranch_execnz .LBB3_12
.LBB3_10:
	s_cmp_eq_u32 s12, 6
	s_cbranch_scc0 .LBB3_25
; %bb.11:
	v_mul_f64 v[0:1], s[2:3], s[2:3]
	v_mul_f64 v[2:3], s[8:9], s[2:3]
	;; [unrolled: 1-line block ×3, first 2 shown]
	s_delay_alu instid0(VALU_DEP_3) | instskip(NEXT) | instid1(VALU_DEP_3)
	v_fma_f64 v[6:7], s[10:11], s[10:11], v[0:1]
	v_fma_f64 v[0:1], s[6:7], s[10:11], v[2:3]
	s_delay_alu instid0(VALU_DEP_3) | instskip(NEXT) | instid1(VALU_DEP_2)
	v_fma_f64 v[2:3], s[8:9], s[10:11], -v[4:5]
	v_div_scale_f64 v[4:5], null, v[6:7], v[6:7], v[0:1]
	s_delay_alu instid0(VALU_DEP_2) | instskip(SKIP_1) | instid1(VALU_DEP_3)
	v_div_scale_f64 v[8:9], null, v[6:7], v[6:7], v[2:3]
	v_div_scale_f64 v[18:19], vcc_lo, v[0:1], v[6:7], v[0:1]
	v_rcp_f64_e32 v[10:11], v[4:5]
	s_delay_alu instid0(VALU_DEP_2) | instskip(SKIP_3) | instid1(VALU_DEP_2)
	v_rcp_f64_e32 v[12:13], v[8:9]
	s_waitcnt_depctr 0xfff
	v_fma_f64 v[14:15], -v[4:5], v[10:11], 1.0
	v_fma_f64 v[16:17], -v[8:9], v[12:13], 1.0
	v_fma_f64 v[10:11], v[10:11], v[14:15], v[10:11]
	s_delay_alu instid0(VALU_DEP_2) | instskip(NEXT) | instid1(VALU_DEP_2)
	v_fma_f64 v[12:13], v[12:13], v[16:17], v[12:13]
	v_fma_f64 v[14:15], -v[4:5], v[10:11], 1.0
	s_delay_alu instid0(VALU_DEP_2) | instskip(NEXT) | instid1(VALU_DEP_2)
	v_fma_f64 v[16:17], -v[8:9], v[12:13], 1.0
	v_fma_f64 v[10:11], v[10:11], v[14:15], v[10:11]
	v_div_scale_f64 v[14:15], s0, v[2:3], v[6:7], v[2:3]
	s_delay_alu instid0(VALU_DEP_3) | instskip(NEXT) | instid1(VALU_DEP_3)
	v_fma_f64 v[12:13], v[12:13], v[16:17], v[12:13]
	v_mul_f64 v[16:17], v[18:19], v[10:11]
	s_delay_alu instid0(VALU_DEP_2) | instskip(NEXT) | instid1(VALU_DEP_2)
	v_mul_f64 v[20:21], v[14:15], v[12:13]
	v_fma_f64 v[4:5], -v[4:5], v[16:17], v[18:19]
	s_delay_alu instid0(VALU_DEP_2) | instskip(NEXT) | instid1(VALU_DEP_2)
	v_fma_f64 v[8:9], -v[8:9], v[20:21], v[14:15]
	v_div_fmas_f64 v[4:5], v[4:5], v[10:11], v[16:17]
	s_mov_b32 vcc_lo, s0
	s_delay_alu instid0(VALU_DEP_2) | instskip(NEXT) | instid1(VALU_DEP_2)
	v_div_fmas_f64 v[8:9], v[8:9], v[12:13], v[20:21]
	v_div_fixup_f64 v[0:1], v[4:5], v[6:7], v[0:1]
	s_delay_alu instid0(VALU_DEP_2)
	v_div_fixup_f64 v[2:3], v[8:9], v[6:7], v[2:3]
.LBB3_12:
	s_cbranch_execnz .LBB3_14
.LBB3_13:
	v_mul_f64 v[0:1], s[8:9], s[2:3]
	v_mul_f64 v[2:3], s[6:7], s[2:3]
	s_delay_alu instid0(VALU_DEP_2) | instskip(NEXT) | instid1(VALU_DEP_2)
	v_fma_f64 v[0:1], s[6:7], s[10:11], -v[0:1]
	v_fma_f64 v[2:3], s[8:9], s[10:11], v[2:3]
.LBB3_14:
	s_cbranch_execnz .LBB3_6
.LBB3_15:
	s_cmp_lt_i32 s12, 3
	s_cbranch_scc1 .LBB3_18
; %bb.16:
	s_cmp_gt_i32 s12, 3
	s_cbranch_scc0 .LBB3_19
; %bb.17:
	v_add_f64 v[0:1], s[6:7], -s[10:11]
	v_add_f64 v[2:3], s[8:9], -s[2:3]
	s_cbranch_execz .LBB3_20
	s_branch .LBB3_21
.LBB3_18:
                                        ; implicit-def: $vgpr2_vgpr3
	s_branch .LBB3_22
.LBB3_19:
                                        ; implicit-def: $vgpr2_vgpr3
.LBB3_20:
	v_add_f64 v[0:1], s[6:7], s[10:11]
	v_add_f64 v[2:3], s[8:9], s[2:3]
.LBB3_21:
	s_cbranch_execnz .LBB3_6
.LBB3_22:
	s_cmp_eq_u32 s12, 2
	s_cbranch_scc0 .LBB3_24
; %bb.23:
	s_xor_b32 s9, s9, 0x80000000
.LBB3_24:
	s_delay_alu instid0(SALU_CYCLE_1)
	v_dual_mov_b32 v2, s8 :: v_dual_mov_b32 v3, s9
	v_dual_mov_b32 v0, s6 :: v_dual_mov_b32 v1, s7
	v_mov_b32_e32 v4, 0
	global_store_b128 v4, v[0:3], s[4:5]
	s_nop 0
	s_sendmsg sendmsg(MSG_DEALLOC_VGPRS)
	s_endpgm
.LBB3_25:
	v_dual_mov_b32 v2, s8 :: v_dual_mov_b32 v3, s9
	v_dual_mov_b32 v0, s6 :: v_dual_mov_b32 v1, s7
	s_cbranch_execz .LBB3_13
	s_branch .LBB3_14
	.section	.rodata,"a",@progbits
	.p2align	6, 0x0
	.amdhsa_kernel _Z19ComplexResultKernelI15HIP_vector_typeIdLj2EEEv15ComplexFunctionPT_S3_S3_S3_
		.amdhsa_group_segment_fixed_size 0
		.amdhsa_private_segment_fixed_size 0
		.amdhsa_kernarg_size 64
		.amdhsa_user_sgpr_count 15
		.amdhsa_user_sgpr_dispatch_ptr 0
		.amdhsa_user_sgpr_queue_ptr 0
		.amdhsa_user_sgpr_kernarg_segment_ptr 1
		.amdhsa_user_sgpr_dispatch_id 0
		.amdhsa_user_sgpr_private_segment_size 0
		.amdhsa_wavefront_size32 1
		.amdhsa_uses_dynamic_stack 0
		.amdhsa_enable_private_segment 0
		.amdhsa_system_sgpr_workgroup_id_x 1
		.amdhsa_system_sgpr_workgroup_id_y 0
		.amdhsa_system_sgpr_workgroup_id_z 0
		.amdhsa_system_sgpr_workgroup_info 0
		.amdhsa_system_vgpr_workitem_id 0
		.amdhsa_next_free_vgpr 22
		.amdhsa_next_free_sgpr 20
		.amdhsa_reserve_vcc 1
		.amdhsa_float_round_mode_32 0
		.amdhsa_float_round_mode_16_64 0
		.amdhsa_float_denorm_mode_32 3
		.amdhsa_float_denorm_mode_16_64 3
		.amdhsa_dx10_clamp 1
		.amdhsa_ieee_mode 1
		.amdhsa_fp16_overflow 0
		.amdhsa_workgroup_processor_mode 1
		.amdhsa_memory_ordered 1
		.amdhsa_forward_progress 0
		.amdhsa_shared_vgpr_count 0
		.amdhsa_exception_fp_ieee_invalid_op 0
		.amdhsa_exception_fp_denorm_src 0
		.amdhsa_exception_fp_ieee_div_zero 0
		.amdhsa_exception_fp_ieee_overflow 0
		.amdhsa_exception_fp_ieee_underflow 0
		.amdhsa_exception_fp_ieee_inexact 0
		.amdhsa_exception_int_div_zero 0
	.end_amdhsa_kernel
	.section	.text._Z19ComplexResultKernelI15HIP_vector_typeIdLj2EEEv15ComplexFunctionPT_S3_S3_S3_,"axG",@progbits,_Z19ComplexResultKernelI15HIP_vector_typeIdLj2EEEv15ComplexFunctionPT_S3_S3_S3_,comdat
.Lfunc_end3:
	.size	_Z19ComplexResultKernelI15HIP_vector_typeIdLj2EEEv15ComplexFunctionPT_S3_S3_S3_, .Lfunc_end3-_Z19ComplexResultKernelI15HIP_vector_typeIdLj2EEEv15ComplexFunctionPT_S3_S3_S3_
                                        ; -- End function
	.section	.AMDGPU.csdata,"",@progbits
; Kernel info:
; codeLenInByte = 664
; NumSgprs: 22
; NumVgprs: 22
; ScratchSize: 0
; MemoryBound: 0
; FloatMode: 240
; IeeeMode: 1
; LDSByteSize: 0 bytes/workgroup (compile time only)
; SGPRBlocks: 2
; VGPRBlocks: 2
; NumSGPRsForWavesPerEU: 22
; NumVGPRsForWavesPerEU: 22
; Occupancy: 16
; WaveLimiterHint : 0
; COMPUTE_PGM_RSRC2:SCRATCH_EN: 0
; COMPUTE_PGM_RSRC2:USER_SGPR: 15
; COMPUTE_PGM_RSRC2:TRAP_HANDLER: 0
; COMPUTE_PGM_RSRC2:TGID_X_EN: 1
; COMPUTE_PGM_RSRC2:TGID_Y_EN: 0
; COMPUTE_PGM_RSRC2:TGID_Z_EN: 0
; COMPUTE_PGM_RSRC2:TIDIG_COMP_CNT: 0
	.section	.text._Z18ScalarResultKernelI15HIP_vector_typeIdLj2EEEv15ComplexFunctionPDtdtcvT__E1xES3_,"axG",@progbits,_Z18ScalarResultKernelI15HIP_vector_typeIdLj2EEEv15ComplexFunctionPDtdtcvT__E1xES3_,comdat
	.protected	_Z18ScalarResultKernelI15HIP_vector_typeIdLj2EEEv15ComplexFunctionPDtdtcvT__E1xES3_ ; -- Begin function _Z18ScalarResultKernelI15HIP_vector_typeIdLj2EEEv15ComplexFunctionPDtdtcvT__E1xES3_
	.globl	_Z18ScalarResultKernelI15HIP_vector_typeIdLj2EEEv15ComplexFunctionPDtdtcvT__E1xES3_
	.p2align	8
	.type	_Z18ScalarResultKernelI15HIP_vector_typeIdLj2EEEv15ComplexFunctionPDtdtcvT__E1xES3_,@function
_Z18ScalarResultKernelI15HIP_vector_typeIdLj2EEEv15ComplexFunctionPDtdtcvT__E1xES3_: ; @_Z18ScalarResultKernelI15HIP_vector_typeIdLj2EEEv15ComplexFunctionPDtdtcvT__E1xES3_
; %bb.0:
	s_clause 0x2
	s_load_b128 s[4:7], s[0:1], 0x8
	s_load_b32 s8, s[0:1], 0x0
	s_load_b64 s[2:3], s[0:1], 0x18
	s_waitcnt lgkmcnt(0)
	s_mov_b32 s0, s6
	s_mov_b32 s1, s7
	s_cmp_lt_i32 s8, 7
	s_mov_b32 s6, 0
	s_cbranch_scc1 .LBB4_4
; %bb.1:
	s_cmp_gt_i32 s8, 7
	s_cbranch_scc0 .LBB4_5
; %bb.2:
	s_cmp_eq_u32 s8, 8
	s_cbranch_scc0 .LBB4_6
; %bb.3:
	v_mul_f64 v[0:1], s[2:3], s[2:3]
	s_mov_b32 s7, 0
	s_delay_alu instid0(VALU_DEP_1)
	v_fma_f64 v[0:1], s[0:1], s[0:1], v[0:1]
	s_branch .LBB4_7
.LBB4_4:
	s_mov_b32 s7, 0
                                        ; implicit-def: $vgpr0_vgpr1
	s_cbranch_execnz .LBB4_10
	s_branch .LBB4_18
.LBB4_5:
	s_mov_b32 s7, 0
                                        ; implicit-def: $vgpr0_vgpr1
	s_cbranch_execnz .LBB4_8
	s_branch .LBB4_9
.LBB4_6:
	s_mov_b32 s7, -1
                                        ; implicit-def: $vgpr0_vgpr1
.LBB4_7:
	s_branch .LBB4_9
.LBB4_8:
	v_mul_f64 v[0:1], s[2:3], s[2:3]
	s_delay_alu instid0(VALU_DEP_1) | instskip(NEXT) | instid1(VALU_DEP_1)
	v_fma_f64 v[0:1], s[0:1], s[0:1], v[0:1]
	v_cmp_gt_f64_e32 vcc_lo, 0x10000000, v[0:1]
	v_cndmask_b32_e64 v2, 0, 1, vcc_lo
	s_and_b32 s9, vcc_lo, exec_lo
	s_cselect_b32 s9, 0xffffff80, 0
	s_delay_alu instid0(VALU_DEP_1) | instskip(NEXT) | instid1(VALU_DEP_1)
	v_lshlrev_b32_e32 v2, 8, v2
	v_ldexp_f64 v[0:1], v[0:1], v2
	s_delay_alu instid0(VALU_DEP_1) | instskip(SKIP_4) | instid1(VALU_DEP_1)
	v_rsq_f64_e32 v[2:3], v[0:1]
	v_cmp_class_f64_e64 vcc_lo, v[0:1], 0x260
	s_waitcnt_depctr 0xfff
	v_mul_f64 v[4:5], v[0:1], v[2:3]
	v_mul_f64 v[2:3], v[2:3], 0.5
	v_fma_f64 v[6:7], -v[2:3], v[4:5], 0.5
	s_delay_alu instid0(VALU_DEP_1) | instskip(SKIP_1) | instid1(VALU_DEP_2)
	v_fma_f64 v[4:5], v[4:5], v[6:7], v[4:5]
	v_fma_f64 v[2:3], v[2:3], v[6:7], v[2:3]
	v_fma_f64 v[6:7], -v[4:5], v[4:5], v[0:1]
	s_delay_alu instid0(VALU_DEP_1) | instskip(NEXT) | instid1(VALU_DEP_1)
	v_fma_f64 v[4:5], v[6:7], v[2:3], v[4:5]
	v_fma_f64 v[6:7], -v[4:5], v[4:5], v[0:1]
	s_delay_alu instid0(VALU_DEP_1) | instskip(NEXT) | instid1(VALU_DEP_1)
	v_fma_f64 v[2:3], v[6:7], v[2:3], v[4:5]
	v_ldexp_f64 v[2:3], v[2:3], s9
	s_delay_alu instid0(VALU_DEP_1)
	v_dual_cndmask_b32 v1, v3, v1 :: v_dual_cndmask_b32 v0, v2, v0
.LBB4_9:
	s_branch .LBB4_18
.LBB4_10:
	s_cmp_gt_i32 s8, 0
	s_cbranch_scc0 .LBB4_13
; %bb.11:
	s_cmp_eq_u32 s8, 1
	s_cbranch_scc0 .LBB4_14
; %bb.12:
	s_mov_b32 s7, 0
	s_branch .LBB4_15
.LBB4_13:
                                        ; implicit-def: $sgpr2_sgpr3
	s_cbranch_execnz .LBB4_16
	s_branch .LBB4_17
.LBB4_14:
	s_mov_b32 s7, -1
                                        ; implicit-def: $sgpr2_sgpr3
.LBB4_15:
	s_branch .LBB4_17
.LBB4_16:
	s_cmp_lg_u32 s8, 0
	s_mov_b32 s6, -1
	s_cselect_b32 s7, -1, 0
                                        ; implicit-def: $sgpr2_sgpr3
.LBB4_17:
	v_dual_mov_b32 v0, s2 :: v_dual_mov_b32 v1, s3
.LBB4_18:
	s_and_b32 vcc_lo, exec_lo, s7
	s_cbranch_vccnz .LBB4_21
; %bb.19:
	s_and_not1_b32 vcc_lo, exec_lo, s6
	s_cbranch_vccz .LBB4_22
.LBB4_20:
	v_mov_b32_e32 v2, 0
	global_store_b64 v2, v[0:1], s[4:5]
	s_nop 0
	s_sendmsg sendmsg(MSG_DEALLOC_VGPRS)
	s_endpgm
.LBB4_21:
	v_dual_mov_b32 v0, s0 :: v_dual_mov_b32 v1, s1
	s_cbranch_execnz .LBB4_20
.LBB4_22:
	v_dual_mov_b32 v0, s0 :: v_dual_mov_b32 v1, s1
	v_mov_b32_e32 v2, 0
	global_store_b64 v2, v[0:1], s[4:5]
	s_nop 0
	s_sendmsg sendmsg(MSG_DEALLOC_VGPRS)
	s_endpgm
	.section	.rodata,"a",@progbits
	.p2align	6, 0x0
	.amdhsa_kernel _Z18ScalarResultKernelI15HIP_vector_typeIdLj2EEEv15ComplexFunctionPDtdtcvT__E1xES3_
		.amdhsa_group_segment_fixed_size 0
		.amdhsa_private_segment_fixed_size 0
		.amdhsa_kernarg_size 32
		.amdhsa_user_sgpr_count 15
		.amdhsa_user_sgpr_dispatch_ptr 0
		.amdhsa_user_sgpr_queue_ptr 0
		.amdhsa_user_sgpr_kernarg_segment_ptr 1
		.amdhsa_user_sgpr_dispatch_id 0
		.amdhsa_user_sgpr_private_segment_size 0
		.amdhsa_wavefront_size32 1
		.amdhsa_uses_dynamic_stack 0
		.amdhsa_enable_private_segment 0
		.amdhsa_system_sgpr_workgroup_id_x 1
		.amdhsa_system_sgpr_workgroup_id_y 0
		.amdhsa_system_sgpr_workgroup_id_z 0
		.amdhsa_system_sgpr_workgroup_info 0
		.amdhsa_system_vgpr_workitem_id 0
		.amdhsa_next_free_vgpr 8
		.amdhsa_next_free_sgpr 10
		.amdhsa_reserve_vcc 1
		.amdhsa_float_round_mode_32 0
		.amdhsa_float_round_mode_16_64 0
		.amdhsa_float_denorm_mode_32 3
		.amdhsa_float_denorm_mode_16_64 3
		.amdhsa_dx10_clamp 1
		.amdhsa_ieee_mode 1
		.amdhsa_fp16_overflow 0
		.amdhsa_workgroup_processor_mode 1
		.amdhsa_memory_ordered 1
		.amdhsa_forward_progress 0
		.amdhsa_shared_vgpr_count 0
		.amdhsa_exception_fp_ieee_invalid_op 0
		.amdhsa_exception_fp_denorm_src 0
		.amdhsa_exception_fp_ieee_div_zero 0
		.amdhsa_exception_fp_ieee_overflow 0
		.amdhsa_exception_fp_ieee_underflow 0
		.amdhsa_exception_fp_ieee_inexact 0
		.amdhsa_exception_int_div_zero 0
	.end_amdhsa_kernel
	.section	.text._Z18ScalarResultKernelI15HIP_vector_typeIdLj2EEEv15ComplexFunctionPDtdtcvT__E1xES3_,"axG",@progbits,_Z18ScalarResultKernelI15HIP_vector_typeIdLj2EEEv15ComplexFunctionPDtdtcvT__E1xES3_,comdat
.Lfunc_end4:
	.size	_Z18ScalarResultKernelI15HIP_vector_typeIdLj2EEEv15ComplexFunctionPDtdtcvT__E1xES3_, .Lfunc_end4-_Z18ScalarResultKernelI15HIP_vector_typeIdLj2EEEv15ComplexFunctionPDtdtcvT__E1xES3_
                                        ; -- End function
	.section	.AMDGPU.csdata,"",@progbits
; Kernel info:
; codeLenInByte = 468
; NumSgprs: 12
; NumVgprs: 8
; ScratchSize: 0
; MemoryBound: 0
; FloatMode: 240
; IeeeMode: 1
; LDSByteSize: 0 bytes/workgroup (compile time only)
; SGPRBlocks: 1
; VGPRBlocks: 0
; NumSGPRsForWavesPerEU: 12
; NumVGPRsForWavesPerEU: 8
; Occupancy: 16
; WaveLimiterHint : 0
; COMPUTE_PGM_RSRC2:SCRATCH_EN: 0
; COMPUTE_PGM_RSRC2:USER_SGPR: 15
; COMPUTE_PGM_RSRC2:TRAP_HANDLER: 0
; COMPUTE_PGM_RSRC2:TGID_X_EN: 1
; COMPUTE_PGM_RSRC2:TGID_Y_EN: 0
; COMPUTE_PGM_RSRC2:TGID_Z_EN: 0
; COMPUTE_PGM_RSRC2:TIDIG_COMP_CNT: 0
	.section	.text._Z21MakeComplexTypeKernelI15HIP_vector_typeIfLj2EEEvPT_DtdtcvS2__E1xES4_,"axG",@progbits,_Z21MakeComplexTypeKernelI15HIP_vector_typeIfLj2EEEvPT_DtdtcvS2__E1xES4_,comdat
	.protected	_Z21MakeComplexTypeKernelI15HIP_vector_typeIfLj2EEEvPT_DtdtcvS2__E1xES4_ ; -- Begin function _Z21MakeComplexTypeKernelI15HIP_vector_typeIfLj2EEEvPT_DtdtcvS2__E1xES4_
	.globl	_Z21MakeComplexTypeKernelI15HIP_vector_typeIfLj2EEEvPT_DtdtcvS2__E1xES4_
	.p2align	8
	.type	_Z21MakeComplexTypeKernelI15HIP_vector_typeIfLj2EEEvPT_DtdtcvS2__E1xES4_,@function
_Z21MakeComplexTypeKernelI15HIP_vector_typeIfLj2EEEvPT_DtdtcvS2__E1xES4_: ; @_Z21MakeComplexTypeKernelI15HIP_vector_typeIfLj2EEEvPT_DtdtcvS2__E1xES4_
; %bb.0:
	s_load_b128 s[0:3], s[0:1], 0x0
	v_mov_b32_e32 v2, 0
	s_waitcnt lgkmcnt(0)
	v_dual_mov_b32 v0, s2 :: v_dual_mov_b32 v1, s3
	global_store_b64 v2, v[0:1], s[0:1]
	s_nop 0
	s_sendmsg sendmsg(MSG_DEALLOC_VGPRS)
	s_endpgm
	.section	.rodata,"a",@progbits
	.p2align	6, 0x0
	.amdhsa_kernel _Z21MakeComplexTypeKernelI15HIP_vector_typeIfLj2EEEvPT_DtdtcvS2__E1xES4_
		.amdhsa_group_segment_fixed_size 0
		.amdhsa_private_segment_fixed_size 0
		.amdhsa_kernarg_size 16
		.amdhsa_user_sgpr_count 15
		.amdhsa_user_sgpr_dispatch_ptr 0
		.amdhsa_user_sgpr_queue_ptr 0
		.amdhsa_user_sgpr_kernarg_segment_ptr 1
		.amdhsa_user_sgpr_dispatch_id 0
		.amdhsa_user_sgpr_private_segment_size 0
		.amdhsa_wavefront_size32 1
		.amdhsa_uses_dynamic_stack 0
		.amdhsa_enable_private_segment 0
		.amdhsa_system_sgpr_workgroup_id_x 1
		.amdhsa_system_sgpr_workgroup_id_y 0
		.amdhsa_system_sgpr_workgroup_id_z 0
		.amdhsa_system_sgpr_workgroup_info 0
		.amdhsa_system_vgpr_workitem_id 0
		.amdhsa_next_free_vgpr 3
		.amdhsa_next_free_sgpr 4
		.amdhsa_reserve_vcc 0
		.amdhsa_float_round_mode_32 0
		.amdhsa_float_round_mode_16_64 0
		.amdhsa_float_denorm_mode_32 3
		.amdhsa_float_denorm_mode_16_64 3
		.amdhsa_dx10_clamp 1
		.amdhsa_ieee_mode 1
		.amdhsa_fp16_overflow 0
		.amdhsa_workgroup_processor_mode 1
		.amdhsa_memory_ordered 1
		.amdhsa_forward_progress 0
		.amdhsa_shared_vgpr_count 0
		.amdhsa_exception_fp_ieee_invalid_op 0
		.amdhsa_exception_fp_denorm_src 0
		.amdhsa_exception_fp_ieee_div_zero 0
		.amdhsa_exception_fp_ieee_overflow 0
		.amdhsa_exception_fp_ieee_underflow 0
		.amdhsa_exception_fp_ieee_inexact 0
		.amdhsa_exception_int_div_zero 0
	.end_amdhsa_kernel
	.section	.text._Z21MakeComplexTypeKernelI15HIP_vector_typeIfLj2EEEvPT_DtdtcvS2__E1xES4_,"axG",@progbits,_Z21MakeComplexTypeKernelI15HIP_vector_typeIfLj2EEEvPT_DtdtcvS2__E1xES4_,comdat
.Lfunc_end5:
	.size	_Z21MakeComplexTypeKernelI15HIP_vector_typeIfLj2EEEvPT_DtdtcvS2__E1xES4_, .Lfunc_end5-_Z21MakeComplexTypeKernelI15HIP_vector_typeIfLj2EEEvPT_DtdtcvS2__E1xES4_
                                        ; -- End function
	.section	.AMDGPU.csdata,"",@progbits
; Kernel info:
; codeLenInByte = 44
; NumSgprs: 4
; NumVgprs: 3
; ScratchSize: 0
; MemoryBound: 0
; FloatMode: 240
; IeeeMode: 1
; LDSByteSize: 0 bytes/workgroup (compile time only)
; SGPRBlocks: 0
; VGPRBlocks: 0
; NumSGPRsForWavesPerEU: 4
; NumVGPRsForWavesPerEU: 3
; Occupancy: 16
; WaveLimiterHint : 0
; COMPUTE_PGM_RSRC2:SCRATCH_EN: 0
; COMPUTE_PGM_RSRC2:USER_SGPR: 15
; COMPUTE_PGM_RSRC2:TRAP_HANDLER: 0
; COMPUTE_PGM_RSRC2:TGID_X_EN: 1
; COMPUTE_PGM_RSRC2:TGID_Y_EN: 0
; COMPUTE_PGM_RSRC2:TGID_Z_EN: 0
; COMPUTE_PGM_RSRC2:TIDIG_COMP_CNT: 0
	.section	.text._Z21MakeComplexTypeKernelI15HIP_vector_typeIdLj2EEEvPT_DtdtcvS2__E1xES4_,"axG",@progbits,_Z21MakeComplexTypeKernelI15HIP_vector_typeIdLj2EEEvPT_DtdtcvS2__E1xES4_,comdat
	.protected	_Z21MakeComplexTypeKernelI15HIP_vector_typeIdLj2EEEvPT_DtdtcvS2__E1xES4_ ; -- Begin function _Z21MakeComplexTypeKernelI15HIP_vector_typeIdLj2EEEvPT_DtdtcvS2__E1xES4_
	.globl	_Z21MakeComplexTypeKernelI15HIP_vector_typeIdLj2EEEvPT_DtdtcvS2__E1xES4_
	.p2align	8
	.type	_Z21MakeComplexTypeKernelI15HIP_vector_typeIdLj2EEEvPT_DtdtcvS2__E1xES4_,@function
_Z21MakeComplexTypeKernelI15HIP_vector_typeIdLj2EEEvPT_DtdtcvS2__E1xES4_: ; @_Z21MakeComplexTypeKernelI15HIP_vector_typeIdLj2EEEvPT_DtdtcvS2__E1xES4_
; %bb.0:
	s_clause 0x1
	s_load_b128 s[4:7], s[0:1], 0x0
	s_load_b64 s[0:1], s[0:1], 0x10
	s_waitcnt lgkmcnt(0)
	v_dual_mov_b32 v4, 0 :: v_dual_mov_b32 v1, s7
	v_dual_mov_b32 v0, s6 :: v_dual_mov_b32 v3, s1
	v_mov_b32_e32 v2, s0
	global_store_b128 v4, v[0:3], s[4:5]
	s_nop 0
	s_sendmsg sendmsg(MSG_DEALLOC_VGPRS)
	s_endpgm
	.section	.rodata,"a",@progbits
	.p2align	6, 0x0
	.amdhsa_kernel _Z21MakeComplexTypeKernelI15HIP_vector_typeIdLj2EEEvPT_DtdtcvS2__E1xES4_
		.amdhsa_group_segment_fixed_size 0
		.amdhsa_private_segment_fixed_size 0
		.amdhsa_kernarg_size 24
		.amdhsa_user_sgpr_count 15
		.amdhsa_user_sgpr_dispatch_ptr 0
		.amdhsa_user_sgpr_queue_ptr 0
		.amdhsa_user_sgpr_kernarg_segment_ptr 1
		.amdhsa_user_sgpr_dispatch_id 0
		.amdhsa_user_sgpr_private_segment_size 0
		.amdhsa_wavefront_size32 1
		.amdhsa_uses_dynamic_stack 0
		.amdhsa_enable_private_segment 0
		.amdhsa_system_sgpr_workgroup_id_x 1
		.amdhsa_system_sgpr_workgroup_id_y 0
		.amdhsa_system_sgpr_workgroup_id_z 0
		.amdhsa_system_sgpr_workgroup_info 0
		.amdhsa_system_vgpr_workitem_id 0
		.amdhsa_next_free_vgpr 5
		.amdhsa_next_free_sgpr 8
		.amdhsa_reserve_vcc 0
		.amdhsa_float_round_mode_32 0
		.amdhsa_float_round_mode_16_64 0
		.amdhsa_float_denorm_mode_32 3
		.amdhsa_float_denorm_mode_16_64 3
		.amdhsa_dx10_clamp 1
		.amdhsa_ieee_mode 1
		.amdhsa_fp16_overflow 0
		.amdhsa_workgroup_processor_mode 1
		.amdhsa_memory_ordered 1
		.amdhsa_forward_progress 0
		.amdhsa_shared_vgpr_count 0
		.amdhsa_exception_fp_ieee_invalid_op 0
		.amdhsa_exception_fp_denorm_src 0
		.amdhsa_exception_fp_ieee_div_zero 0
		.amdhsa_exception_fp_ieee_overflow 0
		.amdhsa_exception_fp_ieee_underflow 0
		.amdhsa_exception_fp_ieee_inexact 0
		.amdhsa_exception_int_div_zero 0
	.end_amdhsa_kernel
	.section	.text._Z21MakeComplexTypeKernelI15HIP_vector_typeIdLj2EEEvPT_DtdtcvS2__E1xES4_,"axG",@progbits,_Z21MakeComplexTypeKernelI15HIP_vector_typeIdLj2EEEvPT_DtdtcvS2__E1xES4_,comdat
.Lfunc_end6:
	.size	_Z21MakeComplexTypeKernelI15HIP_vector_typeIdLj2EEEvPT_DtdtcvS2__E1xES4_, .Lfunc_end6-_Z21MakeComplexTypeKernelI15HIP_vector_typeIdLj2EEEvPT_DtdtcvS2__E1xES4_
                                        ; -- End function
	.section	.AMDGPU.csdata,"",@progbits
; Kernel info:
; codeLenInByte = 64
; NumSgprs: 8
; NumVgprs: 5
; ScratchSize: 0
; MemoryBound: 0
; FloatMode: 240
; IeeeMode: 1
; LDSByteSize: 0 bytes/workgroup (compile time only)
; SGPRBlocks: 0
; VGPRBlocks: 0
; NumSGPRsForWavesPerEU: 8
; NumVGPRsForWavesPerEU: 5
; Occupancy: 16
; WaveLimiterHint : 0
; COMPUTE_PGM_RSRC2:SCRATCH_EN: 0
; COMPUTE_PGM_RSRC2:USER_SGPR: 15
; COMPUTE_PGM_RSRC2:TRAP_HANDLER: 0
; COMPUTE_PGM_RSRC2:TGID_X_EN: 1
; COMPUTE_PGM_RSRC2:TGID_Y_EN: 0
; COMPUTE_PGM_RSRC2:TGID_Z_EN: 0
; COMPUTE_PGM_RSRC2:TIDIG_COMP_CNT: 0
	.section	.text._Z21CastComplexTypeKernelI15HIP_vector_typeIdLj2EES0_IfLj2EEEvPT_T0_,"axG",@progbits,_Z21CastComplexTypeKernelI15HIP_vector_typeIdLj2EES0_IfLj2EEEvPT_T0_,comdat
	.protected	_Z21CastComplexTypeKernelI15HIP_vector_typeIdLj2EES0_IfLj2EEEvPT_T0_ ; -- Begin function _Z21CastComplexTypeKernelI15HIP_vector_typeIdLj2EES0_IfLj2EEEvPT_T0_
	.globl	_Z21CastComplexTypeKernelI15HIP_vector_typeIdLj2EES0_IfLj2EEEvPT_T0_
	.p2align	8
	.type	_Z21CastComplexTypeKernelI15HIP_vector_typeIdLj2EES0_IfLj2EEEvPT_T0_,@function
_Z21CastComplexTypeKernelI15HIP_vector_typeIdLj2EES0_IfLj2EEEvPT_T0_: ; @_Z21CastComplexTypeKernelI15HIP_vector_typeIdLj2EES0_IfLj2EEEvPT_T0_
; %bb.0:
	s_load_b128 s[0:3], s[0:1], 0x0
	v_mov_b32_e32 v4, 0
	s_waitcnt lgkmcnt(0)
	v_cvt_f64_f32_e32 v[0:1], s2
	v_cvt_f64_f32_e32 v[2:3], s3
	global_store_b128 v4, v[0:3], s[0:1]
	s_nop 0
	s_sendmsg sendmsg(MSG_DEALLOC_VGPRS)
	s_endpgm
	.section	.rodata,"a",@progbits
	.p2align	6, 0x0
	.amdhsa_kernel _Z21CastComplexTypeKernelI15HIP_vector_typeIdLj2EES0_IfLj2EEEvPT_T0_
		.amdhsa_group_segment_fixed_size 0
		.amdhsa_private_segment_fixed_size 0
		.amdhsa_kernarg_size 16
		.amdhsa_user_sgpr_count 15
		.amdhsa_user_sgpr_dispatch_ptr 0
		.amdhsa_user_sgpr_queue_ptr 0
		.amdhsa_user_sgpr_kernarg_segment_ptr 1
		.amdhsa_user_sgpr_dispatch_id 0
		.amdhsa_user_sgpr_private_segment_size 0
		.amdhsa_wavefront_size32 1
		.amdhsa_uses_dynamic_stack 0
		.amdhsa_enable_private_segment 0
		.amdhsa_system_sgpr_workgroup_id_x 1
		.amdhsa_system_sgpr_workgroup_id_y 0
		.amdhsa_system_sgpr_workgroup_id_z 0
		.amdhsa_system_sgpr_workgroup_info 0
		.amdhsa_system_vgpr_workitem_id 0
		.amdhsa_next_free_vgpr 5
		.amdhsa_next_free_sgpr 4
		.amdhsa_reserve_vcc 0
		.amdhsa_float_round_mode_32 0
		.amdhsa_float_round_mode_16_64 0
		.amdhsa_float_denorm_mode_32 3
		.amdhsa_float_denorm_mode_16_64 3
		.amdhsa_dx10_clamp 1
		.amdhsa_ieee_mode 1
		.amdhsa_fp16_overflow 0
		.amdhsa_workgroup_processor_mode 1
		.amdhsa_memory_ordered 1
		.amdhsa_forward_progress 0
		.amdhsa_shared_vgpr_count 0
		.amdhsa_exception_fp_ieee_invalid_op 0
		.amdhsa_exception_fp_denorm_src 0
		.amdhsa_exception_fp_ieee_div_zero 0
		.amdhsa_exception_fp_ieee_overflow 0
		.amdhsa_exception_fp_ieee_underflow 0
		.amdhsa_exception_fp_ieee_inexact 0
		.amdhsa_exception_int_div_zero 0
	.end_amdhsa_kernel
	.section	.text._Z21CastComplexTypeKernelI15HIP_vector_typeIdLj2EES0_IfLj2EEEvPT_T0_,"axG",@progbits,_Z21CastComplexTypeKernelI15HIP_vector_typeIdLj2EES0_IfLj2EEEvPT_T0_,comdat
.Lfunc_end7:
	.size	_Z21CastComplexTypeKernelI15HIP_vector_typeIdLj2EES0_IfLj2EEEvPT_T0_, .Lfunc_end7-_Z21CastComplexTypeKernelI15HIP_vector_typeIdLj2EES0_IfLj2EEEvPT_T0_
                                        ; -- End function
	.section	.AMDGPU.csdata,"",@progbits
; Kernel info:
; codeLenInByte = 44
; NumSgprs: 4
; NumVgprs: 5
; ScratchSize: 0
; MemoryBound: 0
; FloatMode: 240
; IeeeMode: 1
; LDSByteSize: 0 bytes/workgroup (compile time only)
; SGPRBlocks: 0
; VGPRBlocks: 0
; NumSGPRsForWavesPerEU: 4
; NumVGPRsForWavesPerEU: 5
; Occupancy: 16
; WaveLimiterHint : 0
; COMPUTE_PGM_RSRC2:SCRATCH_EN: 0
; COMPUTE_PGM_RSRC2:USER_SGPR: 15
; COMPUTE_PGM_RSRC2:TRAP_HANDLER: 0
; COMPUTE_PGM_RSRC2:TGID_X_EN: 1
; COMPUTE_PGM_RSRC2:TGID_Y_EN: 0
; COMPUTE_PGM_RSRC2:TGID_Z_EN: 0
; COMPUTE_PGM_RSRC2:TIDIG_COMP_CNT: 0
	.section	.text._Z21CastComplexTypeKernelI15HIP_vector_typeIfLj2EES0_IdLj2EEEvPT_T0_,"axG",@progbits,_Z21CastComplexTypeKernelI15HIP_vector_typeIfLj2EES0_IdLj2EEEvPT_T0_,comdat
	.protected	_Z21CastComplexTypeKernelI15HIP_vector_typeIfLj2EES0_IdLj2EEEvPT_T0_ ; -- Begin function _Z21CastComplexTypeKernelI15HIP_vector_typeIfLj2EES0_IdLj2EEEvPT_T0_
	.globl	_Z21CastComplexTypeKernelI15HIP_vector_typeIfLj2EES0_IdLj2EEEvPT_T0_
	.p2align	8
	.type	_Z21CastComplexTypeKernelI15HIP_vector_typeIfLj2EES0_IdLj2EEEvPT_T0_,@function
_Z21CastComplexTypeKernelI15HIP_vector_typeIfLj2EES0_IdLj2EEEvPT_T0_: ; @_Z21CastComplexTypeKernelI15HIP_vector_typeIfLj2EES0_IdLj2EEEvPT_T0_
; %bb.0:
	s_clause 0x1
	s_load_b128 s[4:7], s[0:1], 0x10
	s_load_b64 s[0:1], s[0:1], 0x0
	v_mov_b32_e32 v2, 0
	s_waitcnt lgkmcnt(0)
	v_cvt_f32_f64_e32 v0, s[4:5]
	v_cvt_f32_f64_e32 v1, s[6:7]
	global_store_b64 v2, v[0:1], s[0:1]
	s_nop 0
	s_sendmsg sendmsg(MSG_DEALLOC_VGPRS)
	s_endpgm
	.section	.rodata,"a",@progbits
	.p2align	6, 0x0
	.amdhsa_kernel _Z21CastComplexTypeKernelI15HIP_vector_typeIfLj2EES0_IdLj2EEEvPT_T0_
		.amdhsa_group_segment_fixed_size 0
		.amdhsa_private_segment_fixed_size 0
		.amdhsa_kernarg_size 32
		.amdhsa_user_sgpr_count 15
		.amdhsa_user_sgpr_dispatch_ptr 0
		.amdhsa_user_sgpr_queue_ptr 0
		.amdhsa_user_sgpr_kernarg_segment_ptr 1
		.amdhsa_user_sgpr_dispatch_id 0
		.amdhsa_user_sgpr_private_segment_size 0
		.amdhsa_wavefront_size32 1
		.amdhsa_uses_dynamic_stack 0
		.amdhsa_enable_private_segment 0
		.amdhsa_system_sgpr_workgroup_id_x 1
		.amdhsa_system_sgpr_workgroup_id_y 0
		.amdhsa_system_sgpr_workgroup_id_z 0
		.amdhsa_system_sgpr_workgroup_info 0
		.amdhsa_system_vgpr_workitem_id 0
		.amdhsa_next_free_vgpr 3
		.amdhsa_next_free_sgpr 8
		.amdhsa_reserve_vcc 0
		.amdhsa_float_round_mode_32 0
		.amdhsa_float_round_mode_16_64 0
		.amdhsa_float_denorm_mode_32 3
		.amdhsa_float_denorm_mode_16_64 3
		.amdhsa_dx10_clamp 1
		.amdhsa_ieee_mode 1
		.amdhsa_fp16_overflow 0
		.amdhsa_workgroup_processor_mode 1
		.amdhsa_memory_ordered 1
		.amdhsa_forward_progress 0
		.amdhsa_shared_vgpr_count 0
		.amdhsa_exception_fp_ieee_invalid_op 0
		.amdhsa_exception_fp_denorm_src 0
		.amdhsa_exception_fp_ieee_div_zero 0
		.amdhsa_exception_fp_ieee_overflow 0
		.amdhsa_exception_fp_ieee_underflow 0
		.amdhsa_exception_fp_ieee_inexact 0
		.amdhsa_exception_int_div_zero 0
	.end_amdhsa_kernel
	.section	.text._Z21CastComplexTypeKernelI15HIP_vector_typeIfLj2EES0_IdLj2EEEvPT_T0_,"axG",@progbits,_Z21CastComplexTypeKernelI15HIP_vector_typeIfLj2EES0_IdLj2EEEvPT_T0_,comdat
.Lfunc_end8:
	.size	_Z21CastComplexTypeKernelI15HIP_vector_typeIfLj2EES0_IdLj2EEEvPT_T0_, .Lfunc_end8-_Z21CastComplexTypeKernelI15HIP_vector_typeIfLj2EES0_IdLj2EEEvPT_T0_
                                        ; -- End function
	.section	.AMDGPU.csdata,"",@progbits
; Kernel info:
; codeLenInByte = 56
; NumSgprs: 8
; NumVgprs: 3
; ScratchSize: 0
; MemoryBound: 0
; FloatMode: 240
; IeeeMode: 1
; LDSByteSize: 0 bytes/workgroup (compile time only)
; SGPRBlocks: 0
; VGPRBlocks: 0
; NumSGPRsForWavesPerEU: 8
; NumVGPRsForWavesPerEU: 3
; Occupancy: 16
; WaveLimiterHint : 0
; COMPUTE_PGM_RSRC2:SCRATCH_EN: 0
; COMPUTE_PGM_RSRC2:USER_SGPR: 15
; COMPUTE_PGM_RSRC2:TRAP_HANDLER: 0
; COMPUTE_PGM_RSRC2:TGID_X_EN: 1
; COMPUTE_PGM_RSRC2:TGID_Y_EN: 0
; COMPUTE_PGM_RSRC2:TGID_Z_EN: 0
; COMPUTE_PGM_RSRC2:TIDIG_COMP_CNT: 0
	.text
	.p2alignl 7, 3214868480
	.fill 96, 4, 3214868480
	.type	__hip_cuid_726b49ae7508ef48,@object ; @__hip_cuid_726b49ae7508ef48
	.section	.bss,"aw",@nobits
	.globl	__hip_cuid_726b49ae7508ef48
__hip_cuid_726b49ae7508ef48:
	.byte	0                               ; 0x0
	.size	__hip_cuid_726b49ae7508ef48, 1

	.ident	"AMD clang version 19.0.0git (https://github.com/RadeonOpenCompute/llvm-project roc-6.4.0 25133 c7fe45cf4b819c5991fe208aaa96edf142730f1d)"
	.section	".note.GNU-stack","",@progbits
	.addrsig
	.addrsig_sym __hip_cuid_726b49ae7508ef48
	.amdgpu_metadata
---
amdhsa.kernels:
  - .args:
      - .address_space:  global
        .offset:         0
        .size:           8
        .value_kind:     global_buffer
      - .offset:         8
        .size:           4
        .value_kind:     by_value
      - .offset:         12
        .size:           4
        .value_kind:     by_value
    .group_segment_fixed_size: 0
    .kernarg_segment_align: 8
    .kernarg_segment_size: 16
    .language:       OpenCL C
    .language_version:
      - 2
      - 0
    .max_flat_workgroup_size: 1024
    .name:           _Z24MakeHipComplexTypeKernelP15HIP_vector_typeIfLj2EEff
    .private_segment_fixed_size: 0
    .sgpr_count:     4
    .sgpr_spill_count: 0
    .symbol:         _Z24MakeHipComplexTypeKernelP15HIP_vector_typeIfLj2EEff.kd
    .uniform_work_group_size: 1
    .uses_dynamic_stack: false
    .vgpr_count:     3
    .vgpr_spill_count: 0
    .wavefront_size: 32
    .workgroup_processor_mode: 1
  - .args:
      - .offset:         0
        .size:           4
        .value_kind:     by_value
      - .address_space:  global
        .offset:         8
        .size:           8
        .value_kind:     global_buffer
      - .offset:         16
        .size:           8
        .value_kind:     by_value
      - .offset:         24
        .size:           8
        .value_kind:     by_value
      - .offset:         32
        .size:           8
        .value_kind:     by_value
    .group_segment_fixed_size: 0
    .kernarg_segment_align: 8
    .kernarg_segment_size: 40
    .language:       OpenCL C
    .language_version:
      - 2
      - 0
    .max_flat_workgroup_size: 1024
    .name:           _Z19ComplexResultKernelI15HIP_vector_typeIfLj2EEEv15ComplexFunctionPT_S3_S3_S3_
    .private_segment_fixed_size: 0
    .sgpr_count:     14
    .sgpr_spill_count: 0
    .symbol:         _Z19ComplexResultKernelI15HIP_vector_typeIfLj2EEEv15ComplexFunctionPT_S3_S3_S3_.kd
    .uniform_work_group_size: 1
    .uses_dynamic_stack: false
    .vgpr_count:     13
    .vgpr_spill_count: 0
    .wavefront_size: 32
    .workgroup_processor_mode: 1
  - .args:
      - .offset:         0
        .size:           4
        .value_kind:     by_value
      - .address_space:  global
        .offset:         8
        .size:           8
        .value_kind:     global_buffer
      - .offset:         16
        .size:           8
        .value_kind:     by_value
    .group_segment_fixed_size: 0
    .kernarg_segment_align: 8
    .kernarg_segment_size: 24
    .language:       OpenCL C
    .language_version:
      - 2
      - 0
    .max_flat_workgroup_size: 1024
    .name:           _Z18ScalarResultKernelI15HIP_vector_typeIfLj2EEEv15ComplexFunctionPDtdtcvT__E1xES3_
    .private_segment_fixed_size: 0
    .sgpr_count:     10
    .sgpr_spill_count: 0
    .symbol:         _Z18ScalarResultKernelI15HIP_vector_typeIfLj2EEEv15ComplexFunctionPDtdtcvT__E1xES3_.kd
    .uniform_work_group_size: 1
    .uses_dynamic_stack: false
    .vgpr_count:     6
    .vgpr_spill_count: 0
    .wavefront_size: 32
    .workgroup_processor_mode: 1
  - .args:
      - .offset:         0
        .size:           4
        .value_kind:     by_value
      - .address_space:  global
        .offset:         8
        .size:           8
        .value_kind:     global_buffer
      - .offset:         16
        .size:           16
        .value_kind:     by_value
      - .offset:         32
        .size:           16
        .value_kind:     by_value
      - .offset:         48
        .size:           16
        .value_kind:     by_value
    .group_segment_fixed_size: 0
    .kernarg_segment_align: 16
    .kernarg_segment_size: 64
    .language:       OpenCL C
    .language_version:
      - 2
      - 0
    .max_flat_workgroup_size: 1024
    .name:           _Z19ComplexResultKernelI15HIP_vector_typeIdLj2EEEv15ComplexFunctionPT_S3_S3_S3_
    .private_segment_fixed_size: 0
    .sgpr_count:     22
    .sgpr_spill_count: 0
    .symbol:         _Z19ComplexResultKernelI15HIP_vector_typeIdLj2EEEv15ComplexFunctionPT_S3_S3_S3_.kd
    .uniform_work_group_size: 1
    .uses_dynamic_stack: false
    .vgpr_count:     22
    .vgpr_spill_count: 0
    .wavefront_size: 32
    .workgroup_processor_mode: 1
  - .args:
      - .offset:         0
        .size:           4
        .value_kind:     by_value
      - .address_space:  global
        .offset:         8
        .size:           8
        .value_kind:     global_buffer
      - .offset:         16
        .size:           16
        .value_kind:     by_value
    .group_segment_fixed_size: 0
    .kernarg_segment_align: 16
    .kernarg_segment_size: 32
    .language:       OpenCL C
    .language_version:
      - 2
      - 0
    .max_flat_workgroup_size: 1024
    .name:           _Z18ScalarResultKernelI15HIP_vector_typeIdLj2EEEv15ComplexFunctionPDtdtcvT__E1xES3_
    .private_segment_fixed_size: 0
    .sgpr_count:     12
    .sgpr_spill_count: 0
    .symbol:         _Z18ScalarResultKernelI15HIP_vector_typeIdLj2EEEv15ComplexFunctionPDtdtcvT__E1xES3_.kd
    .uniform_work_group_size: 1
    .uses_dynamic_stack: false
    .vgpr_count:     8
    .vgpr_spill_count: 0
    .wavefront_size: 32
    .workgroup_processor_mode: 1
  - .args:
      - .address_space:  global
        .offset:         0
        .size:           8
        .value_kind:     global_buffer
      - .offset:         8
        .size:           4
        .value_kind:     by_value
      - .offset:         12
        .size:           4
        .value_kind:     by_value
    .group_segment_fixed_size: 0
    .kernarg_segment_align: 8
    .kernarg_segment_size: 16
    .language:       OpenCL C
    .language_version:
      - 2
      - 0
    .max_flat_workgroup_size: 1024
    .name:           _Z21MakeComplexTypeKernelI15HIP_vector_typeIfLj2EEEvPT_DtdtcvS2__E1xES4_
    .private_segment_fixed_size: 0
    .sgpr_count:     4
    .sgpr_spill_count: 0
    .symbol:         _Z21MakeComplexTypeKernelI15HIP_vector_typeIfLj2EEEvPT_DtdtcvS2__E1xES4_.kd
    .uniform_work_group_size: 1
    .uses_dynamic_stack: false
    .vgpr_count:     3
    .vgpr_spill_count: 0
    .wavefront_size: 32
    .workgroup_processor_mode: 1
  - .args:
      - .address_space:  global
        .offset:         0
        .size:           8
        .value_kind:     global_buffer
      - .offset:         8
        .size:           8
        .value_kind:     by_value
      - .offset:         16
        .size:           8
        .value_kind:     by_value
    .group_segment_fixed_size: 0
    .kernarg_segment_align: 8
    .kernarg_segment_size: 24
    .language:       OpenCL C
    .language_version:
      - 2
      - 0
    .max_flat_workgroup_size: 1024
    .name:           _Z21MakeComplexTypeKernelI15HIP_vector_typeIdLj2EEEvPT_DtdtcvS2__E1xES4_
    .private_segment_fixed_size: 0
    .sgpr_count:     8
    .sgpr_spill_count: 0
    .symbol:         _Z21MakeComplexTypeKernelI15HIP_vector_typeIdLj2EEEvPT_DtdtcvS2__E1xES4_.kd
    .uniform_work_group_size: 1
    .uses_dynamic_stack: false
    .vgpr_count:     5
    .vgpr_spill_count: 0
    .wavefront_size: 32
    .workgroup_processor_mode: 1
  - .args:
      - .address_space:  global
        .offset:         0
        .size:           8
        .value_kind:     global_buffer
      - .offset:         8
        .size:           8
        .value_kind:     by_value
    .group_segment_fixed_size: 0
    .kernarg_segment_align: 8
    .kernarg_segment_size: 16
    .language:       OpenCL C
    .language_version:
      - 2
      - 0
    .max_flat_workgroup_size: 1024
    .name:           _Z21CastComplexTypeKernelI15HIP_vector_typeIdLj2EES0_IfLj2EEEvPT_T0_
    .private_segment_fixed_size: 0
    .sgpr_count:     4
    .sgpr_spill_count: 0
    .symbol:         _Z21CastComplexTypeKernelI15HIP_vector_typeIdLj2EES0_IfLj2EEEvPT_T0_.kd
    .uniform_work_group_size: 1
    .uses_dynamic_stack: false
    .vgpr_count:     5
    .vgpr_spill_count: 0
    .wavefront_size: 32
    .workgroup_processor_mode: 1
  - .args:
      - .address_space:  global
        .offset:         0
        .size:           8
        .value_kind:     global_buffer
      - .offset:         16
        .size:           16
        .value_kind:     by_value
    .group_segment_fixed_size: 0
    .kernarg_segment_align: 16
    .kernarg_segment_size: 32
    .language:       OpenCL C
    .language_version:
      - 2
      - 0
    .max_flat_workgroup_size: 1024
    .name:           _Z21CastComplexTypeKernelI15HIP_vector_typeIfLj2EES0_IdLj2EEEvPT_T0_
    .private_segment_fixed_size: 0
    .sgpr_count:     8
    .sgpr_spill_count: 0
    .symbol:         _Z21CastComplexTypeKernelI15HIP_vector_typeIfLj2EES0_IdLj2EEEvPT_T0_.kd
    .uniform_work_group_size: 1
    .uses_dynamic_stack: false
    .vgpr_count:     3
    .vgpr_spill_count: 0
    .wavefront_size: 32
    .workgroup_processor_mode: 1
amdhsa.target:   amdgcn-amd-amdhsa--gfx1100
amdhsa.version:
  - 1
  - 2
...

	.end_amdgpu_metadata
